;; amdgpu-corpus repo=ROCm/rocFFT kind=compiled arch=gfx906 opt=O3
	.text
	.amdgcn_target "amdgcn-amd-amdhsa--gfx906"
	.amdhsa_code_object_version 6
	.protected	fft_rtc_fwd_len780_factors_2_3_13_5_2_wgs_234_tpt_78_halfLds_half_ip_CI_unitstride_sbrr_C2R_dirReg ; -- Begin function fft_rtc_fwd_len780_factors_2_3_13_5_2_wgs_234_tpt_78_halfLds_half_ip_CI_unitstride_sbrr_C2R_dirReg
	.globl	fft_rtc_fwd_len780_factors_2_3_13_5_2_wgs_234_tpt_78_halfLds_half_ip_CI_unitstride_sbrr_C2R_dirReg
	.p2align	8
	.type	fft_rtc_fwd_len780_factors_2_3_13_5_2_wgs_234_tpt_78_halfLds_half_ip_CI_unitstride_sbrr_C2R_dirReg,@function
fft_rtc_fwd_len780_factors_2_3_13_5_2_wgs_234_tpt_78_halfLds_half_ip_CI_unitstride_sbrr_C2R_dirReg: ; @fft_rtc_fwd_len780_factors_2_3_13_5_2_wgs_234_tpt_78_halfLds_half_ip_CI_unitstride_sbrr_C2R_dirReg
; %bb.0:
	s_load_dwordx2 s[2:3], s[4:5], 0x50
	s_load_dwordx4 s[8:11], s[4:5], 0x0
	s_load_dwordx2 s[12:13], s[4:5], 0x18
	v_mul_u32_u24_e32 v1, 0x349, v0
	v_lshrrev_b32_e32 v1, 16, v1
	v_mad_u64_u32 v[1:2], s[0:1], s6, 3, v[1:2]
	v_mov_b32_e32 v5, 0
	s_waitcnt lgkmcnt(0)
	v_cmp_lt_u64_e64 s[0:1], s[10:11], 2
	v_mov_b32_e32 v2, v5
	v_mov_b32_e32 v3, 0
	;; [unrolled: 1-line block ×3, first 2 shown]
	s_and_b64 vcc, exec, s[0:1]
	v_mov_b32_e32 v4, 0
	v_mov_b32_e32 v9, v1
	s_cbranch_vccnz .LBB0_8
; %bb.1:
	s_load_dwordx2 s[0:1], s[4:5], 0x10
	s_add_u32 s6, s12, 8
	s_addc_u32 s7, s13, 0
	v_mov_b32_e32 v3, 0
	v_mov_b32_e32 v8, v2
	s_waitcnt lgkmcnt(0)
	s_add_u32 s16, s0, 8
	s_mov_b64 s[14:15], 1
	v_mov_b32_e32 v4, 0
	s_addc_u32 s17, s1, 0
	v_mov_b32_e32 v7, v1
.LBB0_2:                                ; =>This Inner Loop Header: Depth=1
	s_load_dwordx2 s[18:19], s[16:17], 0x0
                                        ; implicit-def: $vgpr9_vgpr10
	s_waitcnt lgkmcnt(0)
	v_or_b32_e32 v6, s19, v8
	v_cmp_ne_u64_e32 vcc, 0, v[5:6]
	s_and_saveexec_b64 s[0:1], vcc
	s_xor_b64 s[20:21], exec, s[0:1]
	s_cbranch_execz .LBB0_4
; %bb.3:                                ;   in Loop: Header=BB0_2 Depth=1
	v_cvt_f32_u32_e32 v2, s18
	v_cvt_f32_u32_e32 v6, s19
	s_sub_u32 s0, 0, s18
	s_subb_u32 s1, 0, s19
	v_mac_f32_e32 v2, 0x4f800000, v6
	v_rcp_f32_e32 v2, v2
	v_mul_f32_e32 v2, 0x5f7ffffc, v2
	v_mul_f32_e32 v6, 0x2f800000, v2
	v_trunc_f32_e32 v6, v6
	v_mac_f32_e32 v2, 0xcf800000, v6
	v_cvt_u32_f32_e32 v6, v6
	v_cvt_u32_f32_e32 v2, v2
	v_mul_lo_u32 v9, s0, v6
	v_mul_hi_u32 v10, s0, v2
	v_mul_lo_u32 v12, s1, v2
	v_mul_lo_u32 v11, s0, v2
	v_add_u32_e32 v9, v10, v9
	v_add_u32_e32 v9, v9, v12
	v_mul_hi_u32 v10, v2, v11
	v_mul_lo_u32 v12, v2, v9
	v_mul_hi_u32 v14, v2, v9
	v_mul_hi_u32 v13, v6, v11
	v_mul_lo_u32 v11, v6, v11
	v_mul_hi_u32 v15, v6, v9
	v_add_co_u32_e32 v10, vcc, v10, v12
	v_addc_co_u32_e32 v12, vcc, 0, v14, vcc
	v_mul_lo_u32 v9, v6, v9
	v_add_co_u32_e32 v10, vcc, v10, v11
	v_addc_co_u32_e32 v10, vcc, v12, v13, vcc
	v_addc_co_u32_e32 v11, vcc, 0, v15, vcc
	v_add_co_u32_e32 v9, vcc, v10, v9
	v_addc_co_u32_e32 v10, vcc, 0, v11, vcc
	v_add_co_u32_e32 v2, vcc, v2, v9
	v_addc_co_u32_e32 v6, vcc, v6, v10, vcc
	v_mul_lo_u32 v9, s0, v6
	v_mul_hi_u32 v10, s0, v2
	v_mul_lo_u32 v11, s1, v2
	v_mul_lo_u32 v12, s0, v2
	v_add_u32_e32 v9, v10, v9
	v_add_u32_e32 v9, v9, v11
	v_mul_lo_u32 v13, v2, v9
	v_mul_hi_u32 v14, v2, v12
	v_mul_hi_u32 v15, v2, v9
	;; [unrolled: 1-line block ×3, first 2 shown]
	v_mul_lo_u32 v12, v6, v12
	v_mul_hi_u32 v10, v6, v9
	v_add_co_u32_e32 v13, vcc, v14, v13
	v_addc_co_u32_e32 v14, vcc, 0, v15, vcc
	v_mul_lo_u32 v9, v6, v9
	v_add_co_u32_e32 v12, vcc, v13, v12
	v_addc_co_u32_e32 v11, vcc, v14, v11, vcc
	v_addc_co_u32_e32 v10, vcc, 0, v10, vcc
	v_add_co_u32_e32 v9, vcc, v11, v9
	v_addc_co_u32_e32 v10, vcc, 0, v10, vcc
	v_add_co_u32_e32 v2, vcc, v2, v9
	v_addc_co_u32_e32 v6, vcc, v6, v10, vcc
	v_mad_u64_u32 v[9:10], s[0:1], v7, v6, 0
	v_mul_hi_u32 v11, v7, v2
	v_add_co_u32_e32 v13, vcc, v11, v9
	v_addc_co_u32_e32 v14, vcc, 0, v10, vcc
	v_mad_u64_u32 v[9:10], s[0:1], v8, v2, 0
	v_mad_u64_u32 v[11:12], s[0:1], v8, v6, 0
	v_add_co_u32_e32 v2, vcc, v13, v9
	v_addc_co_u32_e32 v2, vcc, v14, v10, vcc
	v_addc_co_u32_e32 v6, vcc, 0, v12, vcc
	v_add_co_u32_e32 v2, vcc, v2, v11
	v_addc_co_u32_e32 v6, vcc, 0, v6, vcc
	v_mul_lo_u32 v11, s19, v2
	v_mul_lo_u32 v12, s18, v6
	v_mad_u64_u32 v[9:10], s[0:1], s18, v2, 0
	v_add3_u32 v10, v10, v12, v11
	v_sub_u32_e32 v11, v8, v10
	v_mov_b32_e32 v12, s19
	v_sub_co_u32_e32 v9, vcc, v7, v9
	v_subb_co_u32_e64 v11, s[0:1], v11, v12, vcc
	v_subrev_co_u32_e64 v12, s[0:1], s18, v9
	v_subbrev_co_u32_e64 v11, s[0:1], 0, v11, s[0:1]
	v_cmp_le_u32_e64 s[0:1], s19, v11
	v_cndmask_b32_e64 v13, 0, -1, s[0:1]
	v_cmp_le_u32_e64 s[0:1], s18, v12
	v_cndmask_b32_e64 v12, 0, -1, s[0:1]
	v_cmp_eq_u32_e64 s[0:1], s19, v11
	v_cndmask_b32_e64 v11, v13, v12, s[0:1]
	v_add_co_u32_e64 v12, s[0:1], 2, v2
	v_addc_co_u32_e64 v13, s[0:1], 0, v6, s[0:1]
	v_add_co_u32_e64 v14, s[0:1], 1, v2
	v_addc_co_u32_e64 v15, s[0:1], 0, v6, s[0:1]
	v_subb_co_u32_e32 v10, vcc, v8, v10, vcc
	v_cmp_ne_u32_e64 s[0:1], 0, v11
	v_cmp_le_u32_e32 vcc, s19, v10
	v_cndmask_b32_e64 v11, v15, v13, s[0:1]
	v_cndmask_b32_e64 v13, 0, -1, vcc
	v_cmp_le_u32_e32 vcc, s18, v9
	v_cndmask_b32_e64 v9, 0, -1, vcc
	v_cmp_eq_u32_e32 vcc, s19, v10
	v_cndmask_b32_e32 v9, v13, v9, vcc
	v_cmp_ne_u32_e32 vcc, 0, v9
	v_cndmask_b32_e32 v10, v6, v11, vcc
	v_cndmask_b32_e64 v6, v14, v12, s[0:1]
	v_cndmask_b32_e32 v9, v2, v6, vcc
.LBB0_4:                                ;   in Loop: Header=BB0_2 Depth=1
	s_andn2_saveexec_b64 s[0:1], s[20:21]
	s_cbranch_execz .LBB0_6
; %bb.5:                                ;   in Loop: Header=BB0_2 Depth=1
	v_cvt_f32_u32_e32 v2, s18
	s_sub_i32 s20, 0, s18
	v_rcp_iflag_f32_e32 v2, v2
	v_mul_f32_e32 v2, 0x4f7ffffe, v2
	v_cvt_u32_f32_e32 v2, v2
	v_mul_lo_u32 v6, s20, v2
	v_mul_hi_u32 v6, v2, v6
	v_add_u32_e32 v2, v2, v6
	v_mul_hi_u32 v2, v7, v2
	v_mul_lo_u32 v6, v2, s18
	v_add_u32_e32 v9, 1, v2
	v_sub_u32_e32 v6, v7, v6
	v_subrev_u32_e32 v10, s18, v6
	v_cmp_le_u32_e32 vcc, s18, v6
	v_cndmask_b32_e32 v6, v6, v10, vcc
	v_cndmask_b32_e32 v2, v2, v9, vcc
	v_add_u32_e32 v9, 1, v2
	v_cmp_le_u32_e32 vcc, s18, v6
	v_cndmask_b32_e32 v9, v2, v9, vcc
	v_mov_b32_e32 v10, v5
.LBB0_6:                                ;   in Loop: Header=BB0_2 Depth=1
	s_or_b64 exec, exec, s[0:1]
	v_mul_lo_u32 v2, v10, s18
	v_mul_lo_u32 v6, v9, s19
	v_mad_u64_u32 v[11:12], s[0:1], v9, s18, 0
	s_load_dwordx2 s[0:1], s[6:7], 0x0
	s_add_u32 s14, s14, 1
	v_add3_u32 v2, v12, v6, v2
	v_sub_co_u32_e32 v6, vcc, v7, v11
	v_subb_co_u32_e32 v2, vcc, v8, v2, vcc
	s_waitcnt lgkmcnt(0)
	v_mul_lo_u32 v2, s0, v2
	v_mul_lo_u32 v7, s1, v6
	v_mad_u64_u32 v[3:4], s[0:1], s0, v6, v[3:4]
	s_addc_u32 s15, s15, 0
	s_add_u32 s6, s6, 8
	v_add3_u32 v4, v7, v4, v2
	v_mov_b32_e32 v6, s10
	v_mov_b32_e32 v7, s11
	s_addc_u32 s7, s7, 0
	v_cmp_ge_u64_e32 vcc, s[14:15], v[6:7]
	s_add_u32 s16, s16, 8
	s_addc_u32 s17, s17, 0
	s_cbranch_vccnz .LBB0_8
; %bb.7:                                ;   in Loop: Header=BB0_2 Depth=1
	v_mov_b32_e32 v7, v9
	v_mov_b32_e32 v8, v10
	s_branch .LBB0_2
.LBB0_8:
	s_lshl_b64 s[0:1], s[10:11], 3
	s_add_u32 s0, s12, s0
	s_addc_u32 s1, s13, s1
	s_load_dwordx2 s[0:1], s[0:1], 0x0
	s_mov_b32 s6, 0xaaaaaaab
	v_mul_hi_u32 v5, v1, s6
	s_waitcnt lgkmcnt(0)
	v_mul_lo_u32 v6, s0, v10
	v_mul_lo_u32 v7, s1, v9
	v_mad_u64_u32 v[2:3], s[0:1], s0, v9, v[3:4]
	s_load_dwordx2 s[0:1], s[4:5], 0x20
	s_mov_b32 s4, 0x3483484
	v_lshrrev_b32_e32 v4, 1, v5
	v_mul_hi_u32 v5, v0, s4
	v_lshl_add_u32 v4, v4, 1, v4
	v_sub_u32_e32 v1, v1, v4
	v_add3_u32 v3, v7, v3, v6
	v_mul_u32_u24_e32 v8, 0x30d, v1
	v_mul_u32_u24_e32 v1, 0x4e, v5
	s_waitcnt lgkmcnt(0)
	v_cmp_gt_u64_e32 vcc, s[0:1], v[9:10]
	v_sub_u32_e32 v6, v0, v1
	v_lshlrev_b64 v[4:5], 2, v[2:3]
	v_mov_b32_e32 v7, 0
	v_lshlrev_b32_e32 v22, 2, v8
	v_mov_b32_e32 v0, v6
	s_and_saveexec_b64 s[4:5], vcc
	s_cbranch_execz .LBB0_12
; %bb.9:
	v_mov_b32_e32 v1, s3
	v_add_co_u32_e64 v0, s[0:1], s2, v4
	v_lshlrev_b64 v[2:3], 2, v[6:7]
	v_addc_co_u32_e64 v1, s[0:1], v1, v5, s[0:1]
	v_add_co_u32_e64 v2, s[0:1], v0, v2
	v_addc_co_u32_e64 v3, s[0:1], v1, v3, s[0:1]
	global_load_dword v10, v[2:3], off
	global_load_dword v11, v[2:3], off offset:312
	global_load_dword v12, v[2:3], off offset:624
	;; [unrolled: 1-line block ×9, first 2 shown]
	v_lshlrev_b32_e32 v2, 2, v6
	v_add3_u32 v9, 0, v22, v2
	v_add_u32_e32 v2, 0x400, v9
	v_add_u32_e32 v3, 0x600, v9
	s_movk_i32 s0, 0x4d
	v_add_u32_e32 v20, 0x800, v9
	v_cmp_eq_u32_e64 s[0:1], s0, v6
	s_waitcnt vmcnt(8)
	ds_write2_b32 v9, v10, v11 offset1:78
	s_waitcnt vmcnt(6)
	ds_write2_b32 v9, v12, v13 offset0:156 offset1:234
	s_waitcnt vmcnt(4)
	ds_write2_b32 v2, v14, v15 offset0:56 offset1:134
	;; [unrolled: 2-line block ×4, first 2 shown]
	v_mov_b32_e32 v2, v6
	v_mov_b32_e32 v3, v7
	s_and_saveexec_b64 s[6:7], s[0:1]
	s_cbranch_execz .LBB0_11
; %bb.10:
	global_load_dword v0, v[0:1], off offset:3120
	v_mov_b32_e32 v2, 0x4d
	v_mov_b32_e32 v3, 0
	;; [unrolled: 1-line block ×3, first 2 shown]
	s_waitcnt vmcnt(0)
	ds_write_b32 v9, v0 offset:2812
.LBB0_11:
	s_or_b64 exec, exec, s[6:7]
	v_mov_b32_e32 v0, v6
	v_mov_b32_e32 v7, v3
	;; [unrolled: 1-line block ×3, first 2 shown]
.LBB0_12:
	s_or_b64 exec, exec, s[4:5]
	v_lshl_add_u32 v23, v8, 2, 0
	v_lshlrev_b32_e32 v2, 2, v0
	v_add_u32_e32 v24, v23, v2
	s_waitcnt lgkmcnt(0)
	s_barrier
	v_sub_u32_e32 v3, v23, v2
	ds_read_u16 v1, v24
	ds_read_u16 v8, v3 offset:3120
	v_lshlrev_b64 v[6:7], 2, v[6:7]
	v_cmp_ne_u32_e64 s[0:1], 0, v0
	s_waitcnt lgkmcnt(0)
	v_add_f16_e32 v10, v8, v1
	v_sub_f16_e32 v11, v1, v8
	s_and_saveexec_b64 s[4:5], s[0:1]
	s_xor_b64 s[4:5], exec, s[4:5]
	s_cbranch_execz .LBB0_14
; %bb.13:
	v_mov_b32_e32 v10, s9
	v_add_co_u32_e64 v9, s[0:1], s8, v6
	v_addc_co_u32_e64 v10, s[0:1], v10, v7, s[0:1]
	global_load_dword v9, v[9:10], off offset:3112
	ds_read_u16 v10, v3 offset:3122
	ds_read_u16 v11, v24 offset:2
	v_add_f16_e32 v12, v8, v1
	v_sub_f16_e32 v1, v1, v8
	s_waitcnt lgkmcnt(0)
	v_add_f16_e32 v8, v10, v11
	v_sub_f16_e32 v10, v11, v10
	s_waitcnt vmcnt(0)
	v_lshrrev_b32_e32 v11, 16, v9
	v_fma_f16 v13, v1, v11, v12
	v_fma_f16 v14, v8, v11, v10
	v_fma_f16 v12, -v1, v11, v12
	v_fma_f16 v15, v8, v11, -v10
	v_fma_f16 v10, -v9, v8, v13
	v_fma_f16 v11, v1, v9, v14
	v_fma_f16 v8, v9, v8, v12
	;; [unrolled: 1-line block ×3, first 2 shown]
	v_pack_b32_f16 v1, v8, v1
	ds_write_b32 v3, v1 offset:3120
.LBB0_14:
	s_andn2_saveexec_b64 s[0:1], s[4:5]
	s_cbranch_execz .LBB0_16
; %bb.15:
	ds_read_b32 v1, v23 offset:1560
	s_mov_b32 s4, 0xc0004000
	s_waitcnt lgkmcnt(0)
	v_pk_mul_f16 v1, v1, s4
	ds_write_b32 v23, v1 offset:1560
.LBB0_16:
	s_or_b64 exec, exec, s[0:1]
	v_mov_b32_e32 v1, 0
	s_add_u32 s0, s8, 0xc28
	v_lshlrev_b64 v[8:9], 2, v[0:1]
	s_addc_u32 s1, s9, 0
	v_mov_b32_e32 v1, s1
	v_add_co_u32_e64 v12, s[0:1], s0, v8
	v_addc_co_u32_e64 v13, s[0:1], v1, v9, s[0:1]
	global_load_dword v1, v[12:13], off offset:312
	global_load_dword v14, v[12:13], off offset:624
	;; [unrolled: 1-line block ×4, first 2 shown]
	s_mov_b32 s0, 0x5040100
	v_perm_b32 v10, v11, v10, s0
	ds_write_b32 v24, v10
	ds_read_b32 v10, v24 offset:312
	ds_read_b32 v11, v3 offset:2808
	v_add_u32_e32 v12, 0, v2
	v_add_u32_e32 v25, v12, v2
	;; [unrolled: 1-line block ×3, first 2 shown]
	s_movk_i32 s0, 0x9c0
	s_waitcnt lgkmcnt(0)
	v_add_f16_e32 v13, v10, v11
	v_add_f16_sdwa v17, v11, v10 dst_sel:DWORD dst_unused:UNUSED_PAD src0_sel:WORD_1 src1_sel:WORD_1
	v_sub_f16_e32 v18, v10, v11
	v_sub_f16_sdwa v10, v10, v11 dst_sel:DWORD dst_unused:UNUSED_PAD src0_sel:WORD_1 src1_sel:WORD_1
                                        ; implicit-def: $vgpr29
                                        ; implicit-def: $vgpr30
	s_waitcnt vmcnt(3)
	v_lshrrev_b32_e32 v11, 16, v1
	v_fma_f16 v20, v18, v11, v13
	v_fma_f16 v21, v17, v11, v10
	v_fma_f16 v13, -v18, v11, v13
	v_fma_f16 v10, v17, v11, -v10
	v_fma_f16 v11, -v1, v17, v20
	v_fma_f16 v20, v18, v1, v21
	v_fma_f16 v13, v1, v17, v13
	;; [unrolled: 1-line block ×3, first 2 shown]
	v_pack_b32_f16 v10, v11, v20
	v_pack_b32_f16 v1, v13, v1
	ds_write_b32 v24, v10 offset:312
	ds_write_b32 v3, v1 offset:2808
	ds_read_b32 v10, v24 offset:624
	ds_read_b32 v11, v3 offset:2496
	v_add_u32_e32 v1, v12, v22
	s_waitcnt vmcnt(2)
	v_lshrrev_b32_e32 v12, 16, v14
	v_add_u32_e32 v26, 0x400, v1
	v_add_u32_e32 v18, 0x9c, v0
	s_waitcnt lgkmcnt(0)
	v_add_f16_e32 v13, v10, v11
	v_add_f16_sdwa v17, v11, v10 dst_sel:DWORD dst_unused:UNUSED_PAD src0_sel:WORD_1 src1_sel:WORD_1
	v_sub_f16_e32 v20, v10, v11
	v_sub_f16_sdwa v10, v10, v11 dst_sel:DWORD dst_unused:UNUSED_PAD src0_sel:WORD_1 src1_sel:WORD_1
	v_fma_f16 v11, v20, v12, v13
	v_fma_f16 v21, v17, v12, v10
	v_fma_f16 v13, -v20, v12, v13
	v_fma_f16 v10, v17, v12, -v10
	v_fma_f16 v11, -v14, v17, v11
	v_fma_f16 v12, v20, v14, v21
	v_fma_f16 v13, v14, v17, v13
	;; [unrolled: 1-line block ×3, first 2 shown]
	v_pack_b32_f16 v11, v11, v12
	v_pack_b32_f16 v10, v13, v10
	ds_write_b32 v24, v11 offset:624
	ds_write_b32 v3, v10 offset:2496
	ds_read_b32 v10, v24 offset:936
	ds_read_b32 v11, v3 offset:2184
	s_waitcnt vmcnt(1)
	v_lshrrev_b32_e32 v14, 16, v15
	v_lshlrev_b32_e32 v12, 3, v19
	v_add_u32_e32 v13, 0x200, v1
	s_waitcnt lgkmcnt(0)
	v_add_f16_e32 v17, v10, v11
	v_add_f16_sdwa v20, v11, v10 dst_sel:DWORD dst_unused:UNUSED_PAD src0_sel:WORD_1 src1_sel:WORD_1
	v_sub_f16_e32 v21, v10, v11
	v_sub_f16_sdwa v10, v10, v11 dst_sel:DWORD dst_unused:UNUSED_PAD src0_sel:WORD_1 src1_sel:WORD_1
	v_fma_f16 v11, v21, v14, v17
	v_fma_f16 v27, v20, v14, v10
	v_fma_f16 v17, -v21, v14, v17
	v_fma_f16 v10, v20, v14, -v10
	v_fma_f16 v11, -v15, v20, v11
	v_fma_f16 v14, v21, v15, v27
	v_fma_f16 v17, v15, v20, v17
	;; [unrolled: 1-line block ×3, first 2 shown]
	v_pack_b32_f16 v11, v11, v14
	v_pack_b32_f16 v10, v17, v10
	ds_write_b32 v24, v11 offset:936
	ds_write_b32 v3, v10 offset:2184
	ds_read_b32 v10, v24 offset:1248
	ds_read_b32 v11, v3 offset:1872
	v_add3_u32 v21, 0, v12, v22
	s_waitcnt vmcnt(0)
	v_lshrrev_b32_e32 v12, 16, v16
	v_add_u32_e32 v27, 0x800, v1
	v_add_u32_e32 v20, v25, v22
	s_waitcnt lgkmcnt(0)
	v_add_f16_e32 v14, v10, v11
	v_add_f16_sdwa v15, v11, v10 dst_sel:DWORD dst_unused:UNUSED_PAD src0_sel:WORD_1 src1_sel:WORD_1
	v_sub_f16_e32 v17, v10, v11
	v_sub_f16_sdwa v10, v10, v11 dst_sel:DWORD dst_unused:UNUSED_PAD src0_sel:WORD_1 src1_sel:WORD_1
	v_fma_f16 v11, v17, v12, v14
	v_fma_f16 v28, v15, v12, v10
	v_fma_f16 v14, -v17, v12, v14
	v_fma_f16 v10, v15, v12, -v10
	v_fma_f16 v11, -v16, v15, v11
	v_fma_f16 v12, v16, v15, v14
	v_fma_f16 v14, v17, v16, v28
	;; [unrolled: 1-line block ×3, first 2 shown]
	v_pack_b32_f16 v11, v11, v14
	v_pack_b32_f16 v10, v12, v10
	ds_write_b32 v24, v11 offset:1248
	ds_write_b32 v3, v10 offset:1872
	s_waitcnt lgkmcnt(0)
	s_barrier
	s_barrier
	ds_read2_b32 v[10:11], v13 offset0:106 offset1:184
	ds_read_b32 v3, v1 offset:2808
	ds_read_b32 v28, v24
	ds_read2_b32 v[12:13], v26 offset0:134 offset1:212
	ds_read2_b32 v[14:15], v1 offset0:78 offset1:156
	;; [unrolled: 1-line block ×3, first 2 shown]
	s_waitcnt lgkmcnt(0)
	s_barrier
	v_pk_add_f16 v12, v28, v12 neg_lo:[0,1] neg_hi:[0,1]
	v_pk_add_f16 v13, v14, v13 neg_lo:[0,1] neg_hi:[0,1]
	v_pk_fma_f16 v28, v28, 2.0, v12 op_sel_hi:[1,0,1] neg_lo:[0,0,1] neg_hi:[0,0,1]
	v_pk_add_f16 v16, v15, v16 neg_lo:[0,1] neg_hi:[0,1]
	v_pk_fma_f16 v14, v14, 2.0, v13 op_sel_hi:[1,0,1] neg_lo:[0,0,1] neg_hi:[0,0,1]
	ds_write2_b32 v20, v28, v12 offset1:1
	ds_write2_b32 v21, v14, v13 offset1:1
	v_lshlrev_b32_e32 v12, 3, v18
	v_pk_fma_f16 v15, v15, 2.0, v16 op_sel_hi:[1,0,1] neg_lo:[0,0,1] neg_hi:[0,0,1]
	v_add3_u32 v12, 0, v12, v22
	v_add_u32_e32 v21, 0xea, v0
	ds_write2_b32 v12, v15, v16 offset1:1
	v_pk_add_f16 v12, v10, v17 neg_lo:[0,1] neg_hi:[0,1]
	v_lshlrev_b32_e32 v13, 3, v21
	v_add3_u32 v13, 0, v13, v22
	v_pk_fma_f16 v10, v10, 2.0, v12 op_sel_hi:[1,0,1] neg_lo:[0,0,1] neg_hi:[0,0,1]
	v_pk_add_f16 v20, v11, v3 neg_lo:[0,1] neg_hi:[0,1]
	v_lshl_add_u32 v3, v0, 3, 0
	ds_write2_b32 v13, v10, v12 offset1:1
	v_add3_u32 v3, v3, v22, s0
	v_pk_fma_f16 v10, v11, 2.0, v20 op_sel_hi:[1,0,1] neg_lo:[0,0,1] neg_hi:[0,0,1]
	v_add_u32_e32 v12, 0x600, v1
	ds_write2_b32 v3, v10, v20 offset1:1
	s_waitcnt lgkmcnt(0)
	s_barrier
	ds_read_b32 v3, v24
	ds_read2_b32 v[10:11], v26 offset0:4 offset1:82
	ds_read2_b32 v[12:13], v12 offset0:32 offset1:136
	;; [unrolled: 1-line block ×4, first 2 shown]
	v_cmp_gt_u32_e64 s[0:1], 26, v0
                                        ; implicit-def: $vgpr26
                                        ; implicit-def: $vgpr28
	s_and_saveexec_b64 s[4:5], s[0:1]
	s_cbranch_execz .LBB0_18
; %bb.17:
	ds_read_b32 v28, v1 offset:1976
	ds_read_b32 v26, v1 offset:3016
	;; [unrolled: 1-line block ×3, first 2 shown]
	s_waitcnt lgkmcnt(2)
	v_lshrrev_b32_e32 v30, 16, v28
	s_waitcnt lgkmcnt(1)
	v_lshrrev_b32_e32 v29, 16, v26
.LBB0_18:
	s_or_b64 exec, exec, s[4:5]
	v_and_b32_e32 v27, 1, v0
	v_lshlrev_b32_e32 v31, 3, v27
	global_load_dwordx2 v[31:32], v31, s[8:9]
	s_waitcnt lgkmcnt(3)
	v_lshrrev_b32_e32 v33, 16, v10
	s_waitcnt lgkmcnt(2)
	v_lshrrev_b32_e32 v34, 16, v13
	v_lshrrev_b32_e32 v35, 16, v11
	;; [unrolled: 1-line block ×3, first 2 shown]
	s_waitcnt lgkmcnt(1)
	v_lshrrev_b32_e32 v37, 16, v14
	v_lshrrev_b32_e32 v38, 16, v15
	;; [unrolled: 1-line block ×4, first 2 shown]
	v_mul_u32_u24_e32 v40, 6, v40
	s_movk_i32 s4, 0x3aee
	s_mov_b32 s5, 0xbaee
	s_waitcnt lgkmcnt(0)
	v_lshrrev_b32_e32 v41, 16, v16
	v_lshrrev_b32_e32 v19, 1, v19
	v_or_b32_e32 v40, v40, v27
	v_lshlrev_b32_e32 v40, 2, v40
	v_mul_u32_u24_e32 v19, 6, v19
	v_add3_u32 v40, 0, v40, v22
	v_or_b32_e32 v19, v19, v27
	s_waitcnt vmcnt(0)
	s_barrier
	v_lshlrev_b32_e32 v19, 2, v19
	v_add3_u32 v19, 0, v19, v22
	v_lshrrev_b32_e32 v18, 1, v18
	v_mul_u32_u24_e32 v18, 6, v18
	v_or_b32_e32 v18, v18, v27
	v_lshlrev_b32_e32 v18, 2, v18
	v_add3_u32 v18, 0, v18, v22
	v_mul_f16_sdwa v42, v31, v33 dst_sel:DWORD dst_unused:UNUSED_PAD src0_sel:WORD_1 src1_sel:DWORD
	v_mul_f16_sdwa v43, v31, v10 dst_sel:DWORD dst_unused:UNUSED_PAD src0_sel:WORD_1 src1_sel:DWORD
	v_mul_f16_sdwa v44, v31, v35 dst_sel:DWORD dst_unused:UNUSED_PAD src0_sel:WORD_1 src1_sel:DWORD
	v_mul_f16_sdwa v46, v32, v34 dst_sel:DWORD dst_unused:UNUSED_PAD src0_sel:WORD_1 src1_sel:DWORD
	v_mul_f16_sdwa v47, v31, v36 dst_sel:DWORD dst_unused:UNUSED_PAD src0_sel:WORD_1 src1_sel:DWORD
	v_mul_f16_sdwa v48, v32, v13 dst_sel:DWORD dst_unused:UNUSED_PAD src0_sel:WORD_1 src1_sel:DWORD
	v_mul_f16_sdwa v50, v32, v37 dst_sel:DWORD dst_unused:UNUSED_PAD src0_sel:WORD_1 src1_sel:DWORD
	v_mul_f16_sdwa v51, v32, v38 dst_sel:DWORD dst_unused:UNUSED_PAD src0_sel:WORD_1 src1_sel:DWORD
	v_mul_f16_sdwa v45, v31, v11 dst_sel:DWORD dst_unused:UNUSED_PAD src0_sel:WORD_1 src1_sel:DWORD
	v_mul_f16_sdwa v49, v31, v12 dst_sel:DWORD dst_unused:UNUSED_PAD src0_sel:WORD_1 src1_sel:DWORD
	v_mul_f16_sdwa v52, v32, v14 dst_sel:DWORD dst_unused:UNUSED_PAD src0_sel:WORD_1 src1_sel:DWORD
	v_mul_f16_sdwa v53, v32, v15 dst_sel:DWORD dst_unused:UNUSED_PAD src0_sel:WORD_1 src1_sel:DWORD
	v_mul_f16_sdwa v55, v28, v31 dst_sel:DWORD dst_unused:UNUSED_PAD src0_sel:DWORD src1_sel:WORD_1
	v_mul_f16_sdwa v56, v29, v32 dst_sel:DWORD dst_unused:UNUSED_PAD src0_sel:DWORD src1_sel:WORD_1
	;; [unrolled: 1-line block ×3, first 2 shown]
	v_fma_f16 v10, v31, v10, -v42
	v_fma_f16 v11, v31, v11, -v44
	;; [unrolled: 1-line block ×6, first 2 shown]
	v_fma_f16 v14, v31, v33, v43
	v_fma_f16 v15, v32, v34, v48
	v_mul_f16_sdwa v54, v30, v31 dst_sel:DWORD dst_unused:UNUSED_PAD src0_sel:DWORD src1_sel:WORD_1
	v_fma_f16 v33, v31, v35, v45
	v_fma_f16 v34, v32, v37, v52
	;; [unrolled: 1-line block ×4, first 2 shown]
	v_fma_f16 v43, v26, v32, -v56
	v_fma_f16 v45, v29, v32, v57
	v_add_f16_e32 v26, v10, v13
	v_sub_f16_e32 v30, v14, v15
	v_add_f16_e32 v32, v10, v3
	v_sub_f16_e32 v35, v10, v13
	v_add_f16_e32 v10, v14, v39
	v_add_f16_e32 v14, v14, v15
	v_fma_f16 v36, v31, v36, v49
	v_add_f16_e32 v29, v42, v44
	v_add_f16_e32 v48, v16, v11
	;; [unrolled: 1-line block ×3, first 2 shown]
	v_sub_f16_e32 v50, v11, v12
	v_fma_f16 v11, v26, -0.5, v3
	v_add_f16_e32 v26, v10, v15
	v_fma_f16 v15, v14, -0.5, v39
	v_fma_f16 v28, v28, v31, -v54
	v_sub_f16_e32 v31, v36, v37
	v_sub_f16_e32 v46, v33, v34
	v_add_f16_e32 v47, v41, v33
	v_add_f16_e32 v33, v33, v34
	v_fma_f16 v51, v29, -0.5, v17
	v_add_f16_e32 v3, v32, v13
	v_add_f16_e32 v14, v48, v12
	v_fma_f16 v12, v30, s4, v11
	v_fma_f16 v13, v30, s5, v11
	;; [unrolled: 1-line block ×3, first 2 shown]
	v_add_f16_e32 v29, v47, v34
	v_fma_f16 v33, v33, -0.5, v41
	v_fma_f16 v16, v49, -0.5, v16
	v_fma_f16 v10, v31, s4, v51
	v_fma_f16 v11, v31, s5, v51
	v_pack_b32_f16 v32, v3, v26
	v_fma_f16 v31, v35, s4, v15
	v_pack_b32_f16 v34, v12, v30
	;; [unrolled: 2-line block ×3, first 2 shown]
	ds_write2_b32 v40, v32, v34 offset1:2
	ds_write_b32 v40, v35 offset:16
	v_fma_f16 v32, v50, s5, v33
	v_pack_b32_f16 v34, v14, v29
	v_pack_b32_f16 v35, v15, v32
	ds_write2_b32 v19, v34, v35 offset1:2
	v_fma_f16 v34, v50, s4, v33
	v_fma_f16 v16, v46, s5, v16
	v_pack_b32_f16 v33, v16, v34
	ds_write_b32 v19, v33 offset:16
	v_lshrrev_b32_e32 v19, 16, v17
	v_add_f16_e32 v33, v19, v36
	v_add_f16_e32 v35, v33, v37
	;; [unrolled: 1-line block ×4, first 2 shown]
	v_fma_f16 v19, v33, -0.5, v19
	v_sub_f16_e32 v33, v42, v44
	v_add_f16_e32 v17, v17, v44
	v_fma_f16 v37, v33, s5, v19
	v_fma_f16 v33, v33, s4, v19
	v_pack_b32_f16 v36, v17, v35
	v_pack_b32_f16 v39, v10, v37
	;; [unrolled: 1-line block ×3, first 2 shown]
	ds_write2_b32 v18, v36, v39 offset1:2
	ds_write_b32 v18, v19 offset:16
	v_lshrrev_b32_e32 v18, 16, v20
	v_add_f16_e32 v19, v18, v38
	v_add_f16_e32 v36, v19, v45
	;; [unrolled: 1-line block ×3, first 2 shown]
	v_fma_f16 v18, v19, -0.5, v18
	v_add_f16_e32 v19, v28, v43
	v_sub_f16_e32 v40, v38, v45
	v_fma_f16 v41, v19, -0.5, v20
	v_add_f16_e32 v19, v20, v28
	v_sub_f16_e32 v20, v28, v43
	v_fma_f16 v38, v20, s5, v18
	v_fma_f16 v39, v20, s4, v18
	v_add_f16_e32 v18, v19, v43
	v_fma_f16 v19, v40, s4, v41
	v_fma_f16 v20, v40, s5, v41
	s_and_saveexec_b64 s[4:5], s[0:1]
	s_cbranch_execz .LBB0_20
; %bb.19:
	v_lshrrev_b32_e32 v21, 1, v21
	v_mul_u32_u24_e32 v21, 6, v21
	v_or_b32_e32 v21, v21, v27
	v_lshlrev_b32_e32 v21, 2, v21
	s_mov_b32 s0, 0x5040100
	v_add3_u32 v21, 0, v21, v22
	v_perm_b32 v27, v36, v18, s0
	v_perm_b32 v28, v38, v19, s0
	ds_write2_b32 v21, v27, v28 offset1:2
	v_perm_b32 v27, v39, v20, s0
	ds_write_b32 v21, v27 offset:16
.LBB0_20:
	s_or_b64 exec, exec, s[4:5]
	v_cmp_gt_u32_e64 s[0:1], 60, v0
	s_waitcnt lgkmcnt(0)
	s_barrier
	s_waitcnt lgkmcnt(0)
                                        ; implicit-def: $vgpr40
	s_and_saveexec_b64 s[4:5], s[0:1]
	s_cbranch_execz .LBB0_22
; %bb.21:
	v_add_u32_e32 v16, 0x400, v1
	v_add_u32_e32 v17, 0x800, v1
	ds_read_b32 v3, v24
	ds_read2_b32 v[12:13], v1 offset0:60 offset1:120
	ds_read2_b32 v[10:11], v16 offset0:164 offset1:224
	;; [unrolled: 1-line block ×6, first 2 shown]
	s_waitcnt lgkmcnt(6)
	v_lshrrev_b32_e32 v26, 16, v3
	s_waitcnt lgkmcnt(3)
	v_lshrrev_b32_e32 v36, 16, v18
	v_lshrrev_b32_e32 v33, 16, v11
	;; [unrolled: 1-line block ×3, first 2 shown]
	s_waitcnt lgkmcnt(1)
	v_lshrrev_b32_e32 v39, 16, v20
	v_lshrrev_b32_e32 v40, 16, v21
	;; [unrolled: 1-line block ×6, first 2 shown]
	s_waitcnt lgkmcnt(0)
	v_lshrrev_b32_e32 v34, 16, v16
	v_lshrrev_b32_e32 v35, 16, v17
	;; [unrolled: 1-line block ×3, first 2 shown]
.LBB0_22:
	s_or_b64 exec, exec, s[4:5]
	s_barrier
	s_and_saveexec_b64 s[4:5], s[0:1]
	s_cbranch_execz .LBB0_24
; %bb.23:
	s_movk_i32 s0, 0xab
	v_mul_lo_u16_sdwa v27, v0, s0 dst_sel:DWORD dst_unused:UNUSED_PAD src0_sel:BYTE_0 src1_sel:DWORD
	v_lshrrev_b16_e32 v27, 10, v27
	v_mul_lo_u16_e32 v28, 6, v27
	v_sub_u16_e32 v28, v0, v28
	v_mov_b32_e32 v41, 12
	v_mul_u32_u24_sdwa v41, v28, v41 dst_sel:DWORD dst_unused:UNUSED_PAD src0_sel:BYTE_0 src1_sel:DWORD
	v_lshlrev_b32_e32 v53, 2, v41
	global_load_dwordx4 v[41:44], v53, s[8:9] offset:48
	global_load_dwordx4 v[45:48], v53, s[8:9] offset:16
	;; [unrolled: 1-line block ×3, first 2 shown]
	s_movk_i32 s14, 0x3b7b
	s_mov_b32 s12, 0xb94e
	s_mov_b32 s15, 0xb770
	s_movk_i32 s13, 0x3bf1
	s_mov_b32 s17, 0xb3a8
	s_mov_b32 s16, 0xba95
	;; [unrolled: 1-line block ×4, first 2 shown]
	s_movk_i32 s6, 0x3b15
	s_movk_i32 s7, 0x2fb7
	s_mov_b32 s10, 0xbbc4
	s_movk_i32 s11, 0x388b
	s_movk_i32 s18, 0x394e
	s_mov_b32 s19, 0xbbf1
	s_movk_i32 s20, 0x3a95
	s_movk_i32 s21, 0x33a8
	s_waitcnt vmcnt(2)
	v_mul_f16_sdwa v53, v21, v44 dst_sel:DWORD dst_unused:UNUSED_PAD src0_sel:DWORD src1_sel:WORD_1
	s_waitcnt vmcnt(1)
	v_mul_f16_sdwa v61, v12, v45 dst_sel:DWORD dst_unused:UNUSED_PAD src0_sel:DWORD src1_sel:WORD_1
	v_mul_f16_sdwa v54, v40, v44 dst_sel:DWORD dst_unused:UNUSED_PAD src0_sel:DWORD src1_sel:WORD_1
	v_mul_f16_sdwa v55, v20, v43 dst_sel:DWORD dst_unused:UNUSED_PAD src0_sel:DWORD src1_sel:WORD_1
	v_mul_f16_sdwa v59, v18, v41 dst_sel:DWORD dst_unused:UNUSED_PAD src0_sel:DWORD src1_sel:WORD_1
	v_mul_f16_sdwa v60, v36, v41 dst_sel:DWORD dst_unused:UNUSED_PAD src0_sel:DWORD src1_sel:WORD_1
	v_mul_f16_sdwa v62, v30, v45 dst_sel:DWORD dst_unused:UNUSED_PAD src0_sel:DWORD src1_sel:WORD_1
	v_mul_f16_sdwa v63, v13, v46 dst_sel:DWORD dst_unused:UNUSED_PAD src0_sel:DWORD src1_sel:WORD_1
	v_fma_f16 v40, v40, v44, v53
	v_fma_f16 v30, v30, v45, v61
	v_mul_f16_sdwa v56, v39, v43 dst_sel:DWORD dst_unused:UNUSED_PAD src0_sel:DWORD src1_sel:WORD_1
	v_mul_f16_sdwa v57, v19, v42 dst_sel:DWORD dst_unused:UNUSED_PAD src0_sel:DWORD src1_sel:WORD_1
	;; [unrolled: 1-line block ×5, first 2 shown]
	v_fma_f16 v21, v21, v44, -v54
	v_fma_f16 v39, v39, v43, v55
	v_fma_f16 v18, v18, v41, -v60
	v_fma_f16 v36, v36, v41, v59
	;; [unrolled: 2-line block ×3, first 2 shown]
	v_add_f16_e32 v41, v30, v40
	v_mul_f16_sdwa v66, v29, v47 dst_sel:DWORD dst_unused:UNUSED_PAD src0_sel:DWORD src1_sel:WORD_1
	v_mul_f16_sdwa v68, v15, v48 dst_sel:DWORD dst_unused:UNUSED_PAD src0_sel:DWORD src1_sel:WORD_1
	v_fma_f16 v20, v20, v43, -v56
	v_fma_f16 v38, v38, v42, v57
	v_fma_f16 v19, v19, v42, -v58
	v_fma_f16 v13, v13, v46, -v64
	v_fma_f16 v29, v29, v47, v65
	v_sub_f16_e32 v42, v12, v21
	v_add_f16_e32 v43, v31, v39
	v_mul_f16_e32 v54, 0xb5ac, v41
	v_mul_f16_sdwa v67, v32, v48 dst_sel:DWORD dst_unused:UNUSED_PAD src0_sel:DWORD src1_sel:WORD_1
	s_waitcnt vmcnt(0)
	v_mul_f16_sdwa v69, v11, v52 dst_sel:DWORD dst_unused:UNUSED_PAD src0_sel:DWORD src1_sel:WORD_1
	v_mul_f16_sdwa v70, v16, v49 dst_sel:DWORD dst_unused:UNUSED_PAD src0_sel:DWORD src1_sel:WORD_1
	v_fma_f16 v14, v14, v47, -v66
	v_fma_f16 v32, v32, v48, v68
	v_sub_f16_e32 v44, v13, v20
	v_add_f16_e32 v45, v29, v38
	v_mul_f16_e32 v55, 0xb9fd, v43
	v_fma_f16 v60, v42, s14, v54
	v_mul_f16_sdwa v71, v34, v49 dst_sel:DWORD dst_unused:UNUSED_PAD src0_sel:DWORD src1_sel:WORD_1
	v_mul_f16_sdwa v72, v33, v52 dst_sel:DWORD dst_unused:UNUSED_PAD src0_sel:DWORD src1_sel:WORD_1
	;; [unrolled: 1-line block ×4, first 2 shown]
	v_fma_f16 v15, v15, v48, -v67
	v_fma_f16 v33, v33, v52, v69
	v_fma_f16 v34, v34, v49, v70
	v_sub_f16_e32 v46, v14, v19
	v_add_f16_e32 v47, v32, v36
	v_mul_f16_e32 v56, 0x3b15, v45
	v_fma_f16 v61, v44, s12, v55
	v_add_f16_e32 v60, v26, v60
	v_mul_f16_sdwa v75, v35, v50 dst_sel:DWORD dst_unused:UNUSED_PAD src0_sel:DWORD src1_sel:WORD_1
	v_mul_f16_sdwa v76, v37, v51 dst_sel:DWORD dst_unused:UNUSED_PAD src0_sel:DWORD src1_sel:WORD_1
	v_fma_f16 v16, v16, v49, -v71
	v_fma_f16 v11, v11, v52, -v72
	v_fma_f16 v37, v37, v51, v73
	v_fma_f16 v35, v35, v50, v74
	v_sub_f16_e32 v48, v15, v18
	v_add_f16_e32 v49, v34, v33
	v_mul_f16_e32 v57, 0x2fb7, v47
	v_fma_f16 v62, v46, s15, v56
	v_add_f16_e32 v60, v61, v60
	v_fma_f16 v17, v17, v50, -v75
	v_fma_f16 v10, v10, v51, -v76
	v_sub_f16_e32 v50, v16, v11
	v_add_f16_e32 v51, v35, v37
	v_mul_f16_e32 v58, 0xbbc4, v49
	v_fma_f16 v63, v48, s13, v57
	v_add_f16_e32 v60, v62, v60
	v_sub_f16_e32 v52, v17, v10
	v_mul_f16_e32 v59, 0x388b, v51
	v_fma_f16 v64, v50, s17, v58
	v_add_f16_e32 v60, v63, v60
	v_fma_f16 v65, v52, s16, v59
	v_add_f16_e32 v60, v64, v60
	v_sub_f16_e32 v61, v30, v40
	v_add_f16_e32 v53, v12, v21
	v_add_f16_e32 v60, v65, v60
	v_mul_f16_e32 v62, 0xbb7b, v61
	v_sub_f16_e32 v65, v31, v39
	v_fma_f16 v63, v53, s1, v62
	v_add_f16_e32 v64, v13, v20
	v_mul_f16_e32 v66, 0x394e, v65
	v_add_f16_e32 v63, v3, v63
	v_fma_f16 v67, v64, s0, v66
	v_sub_f16_e32 v68, v29, v38
	v_add_f16_e32 v63, v67, v63
	v_add_f16_e32 v67, v14, v19
	v_mul_f16_e32 v69, 0x3770, v68
	v_fma_f16 v70, v67, s6, v69
	v_sub_f16_e32 v71, v32, v36
	v_add_f16_e32 v63, v70, v63
	v_add_f16_e32 v70, v15, v18
	v_mul_f16_e32 v72, 0xbbf1, v71
	;; [unrolled: 5-line block ×4, first 2 shown]
	v_fma_f16 v79, v76, s11, v78
	v_add_f16_e32 v63, v79, v63
	v_mul_f16_e32 v79, 0xb9fd, v41
	v_fma_f16 v80, v42, s18, v79
	v_mul_f16_e32 v81, 0x2fb7, v43
	v_add_f16_e32 v80, v26, v80
	v_fma_f16 v82, v44, s19, v81
	v_add_f16_e32 v80, v82, v80
	v_mul_f16_e32 v82, 0x388b, v45
	v_fma_f16 v83, v46, s20, v82
	v_add_f16_e32 v80, v83, v80
	v_mul_f16_e32 v83, 0xbbc4, v47
	;; [unrolled: 3-line block ×5, first 2 shown]
	v_fma_f16 v87, v53, s0, v86
	v_mul_f16_e32 v88, 0x3bf1, v65
	v_add_f16_e32 v87, v3, v87
	v_fma_f16 v89, v64, s7, v88
	v_add_f16_e32 v87, v89, v87
	v_mul_f16_e32 v89, 0xba95, v68
	v_fma_f16 v90, v67, s11, v89
	v_add_f16_e32 v87, v90, v87
	v_mul_f16_e32 v90, 0x33a8, v71
	;; [unrolled: 3-line block ×5, first 2 shown]
	v_fma_f16 v94, v42, s21, v93
	v_mul_f16_e32 v95, 0x3b15, v43
	v_add_f16_e32 v94, v26, v94
	v_fma_f16 v96, v44, s15, v95
	v_add_f16_e32 v94, v96, v94
	v_mul_f16_e32 v96, 0xb9fd, v45
	v_fma_f16 v97, v46, s18, v96
	v_add_f16_e32 v94, v97, v94
	v_mul_f16_e32 v97, 0x388b, v47
	v_fma_f16 v98, v48, s16, v97
	s_mov_b32 s15, 0xbb7b
	v_add_f16_e32 v94, v98, v94
	v_mul_f16_e32 v98, 0xb5ac, v49
	v_fma_f16 v54, v42, s15, v54
	v_fma_f16 v99, v50, s14, v98
	s_movk_i32 s14, 0x3770
	v_add_f16_e32 v54, v26, v54
	v_fma_f16 v55, v44, s18, v55
	v_add_f16_e32 v54, v55, v54
	v_fma_f16 v55, v46, s14, v56
	;; [unrolled: 2-line block ×5, first 2 shown]
	v_add_f16_e32 v54, v55, v54
	v_fma_f16 v55, v53, s1, -v62
	v_add_f16_e32 v55, v3, v55
	v_fma_f16 v56, v64, s0, -v66
	;; [unrolled: 2-line block ×6, first 2 shown]
	v_add_f16_e32 v55, v56, v55
	v_mul_f16_e32 v56, 0xbbf1, v42
	v_fma_f16 v79, v42, s12, v79
	v_fma_f16 v57, v41, s7, v56
	v_mul_f16_e32 v58, 0xb3a8, v44
	v_add_f16_e32 v79, v26, v79
	v_fma_f16 v81, v44, s13, v81
	v_add_f16_e32 v57, v26, v57
	v_fma_f16 v59, v43, s10, v58
	;; [unrolled: 2-line block ×3, first 2 shown]
	v_add_f16_e32 v57, v59, v57
	v_mul_f16_e32 v59, 0x3b7b, v46
	v_add_f16_e32 v79, v81, v79
	v_fma_f16 v81, v48, s21, v83
	v_fma_f16 v62, v45, s1, v59
	v_add_f16_e32 v79, v81, v79
	v_fma_f16 v81, v50, s14, v84
	v_add_f16_e32 v57, v62, v57
	v_mul_f16_e32 v62, 0x3770, v48
	v_add_f16_e32 v79, v81, v79
	v_fma_f16 v81, v52, s15, v85
	v_fma_f16 v66, v47, s6, v62
	v_add_f16_e32 v79, v81, v79
	v_fma_f16 v81, v53, s0, -v86
	v_add_f16_e32 v57, v66, v57
	v_mul_f16_e32 v66, 0xba95, v50
	v_add_f16_e32 v81, v3, v81
	v_fma_f16 v82, v64, s7, -v88
	v_fma_f16 v69, v49, s11, v66
	v_add_f16_e32 v81, v82, v81
	v_fma_f16 v82, v67, s11, -v89
	v_add_f16_e32 v57, v69, v57
	v_mul_f16_e32 v69, 0xb94e, v52
	v_add_f16_e32 v81, v82, v81
	v_fma_f16 v82, v70, s10, -v90
	;; [unrolled: 7-line block ×3, first 2 shown]
	v_fma_f16 v75, v53, s7, -v72
	v_mul_f16_e32 v78, 0xb3a8, v65
	v_add_f16_e32 v81, v82, v81
	v_add_f16_e32 v75, v3, v75
	v_fma_f16 v82, v64, s10, -v78
	v_add_f16_e32 v75, v82, v75
	v_mul_f16_e32 v82, 0x3b7b, v68
	v_add_f16_e32 v12, v3, v12
	v_fma_f16 v83, v67, s1, -v82
	v_add_f16_e32 v12, v12, v13
	v_add_f16_e32 v75, v83, v75
	v_mul_f16_e32 v83, 0x3770, v71
	v_add_f16_e32 v12, v12, v14
	v_add_f16_e32 v94, v99, v94
	v_mul_f16_e32 v99, 0x2fb7, v51
	v_fma_f16 v84, v70, s6, -v83
	v_add_f16_e32 v12, v12, v15
	v_fma_f16 v100, v52, s19, v99
	v_fma_f16 v93, v42, s17, v93
	v_add_f16_e32 v75, v84, v75
	v_mul_f16_e32 v84, 0xba95, v74
	v_add_f16_e32 v12, v12, v16
	v_add_f16_e32 v94, v100, v94
	v_mul_f16_e32 v100, 0xb3a8, v61
	v_add_f16_e32 v93, v26, v93
	v_fma_f16 v95, v44, s14, v95
	v_fma_f16 v85, v73, s11, -v84
	v_add_f16_e32 v12, v12, v17
	v_fma_f16 v101, v53, s10, v100
	v_mul_f16_e32 v102, 0x3770, v65
	v_add_f16_e32 v93, v95, v93
	v_fma_f16 v95, v46, s12, v96
	v_add_f16_e32 v75, v85, v75
	v_mul_f16_e32 v85, 0xb94e, v77
	v_add_f16_e32 v10, v12, v10
	v_fma_f16 v12, v41, s7, -v56
	v_add_f16_e32 v101, v3, v101
	v_fma_f16 v103, v64, s6, v102
	v_add_f16_e32 v93, v95, v93
	v_fma_f16 v95, v48, s20, v97
	v_fma_f16 v86, v76, s0, -v85
	v_add_f16_e32 v12, v26, v12
	v_fma_f16 v13, v43, s10, -v58
	v_add_f16_e32 v101, v103, v101
	v_mul_f16_e32 v103, 0xb94e, v68
	v_add_f16_e32 v93, v95, v93
	v_fma_f16 v95, v50, s15, v98
	v_add_f16_e32 v75, v86, v75
	v_mul_f16_e32 v86, 0xba95, v42
	v_add_f16_e32 v12, v13, v12
	v_fma_f16 v13, v45, s1, -v59
	v_fma_f16 v104, v67, s0, v103
	v_add_f16_e32 v93, v95, v93
	v_fma_f16 v95, v52, s13, v99
	v_fma_f16 v88, v41, s11, v86
	v_mul_f16_e32 v89, 0xbb7b, v44
	v_add_f16_e32 v12, v13, v12
	v_fma_f16 v13, v47, s6, -v62
	v_add_f16_e32 v101, v104, v101
	v_mul_f16_e32 v104, 0x3a95, v71
	v_add_f16_e32 v93, v95, v93
	v_fma_f16 v95, v53, s10, -v100
	v_add_f16_e32 v88, v26, v88
	v_fma_f16 v90, v43, s1, v89
	v_add_f16_e32 v12, v13, v12
	v_fma_f16 v13, v49, s11, -v66
	v_fma_f16 v105, v70, s11, v104
	v_add_f16_e32 v95, v3, v95
	v_fma_f16 v96, v64, s6, -v102
	v_add_f16_e32 v88, v90, v88
	v_mul_f16_e32 v90, 0xb3a8, v46
	v_add_f16_e32 v12, v13, v12
	v_fma_f16 v13, v51, s0, -v69
	v_add_f16_e32 v101, v105, v101
	v_mul_f16_e32 v105, 0xbb7b, v74
	v_add_f16_e32 v95, v96, v95
	v_fma_f16 v96, v67, s0, -v103
	v_fma_f16 v91, v45, s10, v90
	v_add_f16_e32 v12, v13, v12
	v_fma_f16 v13, v53, s7, v72
	v_fma_f16 v106, v73, s1, v105
	v_add_f16_e32 v95, v96, v95
	v_fma_f16 v96, v70, s11, -v104
	v_add_f16_e32 v88, v91, v88
	v_mul_f16_e32 v91, 0x394e, v48
	v_add_f16_e32 v13, v3, v13
	v_fma_f16 v14, v64, s10, v78
	v_add_f16_e32 v101, v106, v101
	v_mul_f16_e32 v106, 0x3bf1, v77
	v_add_f16_e32 v95, v96, v95
	v_fma_f16 v96, v73, s1, -v105
	v_fma_f16 v92, v47, s0, v91
	v_add_f16_e32 v13, v14, v13
	v_fma_f16 v14, v67, s1, v82
	v_add_f16_e32 v95, v96, v95
	v_fma_f16 v96, v76, s7, -v106
	v_add_f16_e32 v88, v92, v88
	v_mul_f16_e32 v92, 0x3bf1, v50
	v_add_f16_e32 v13, v14, v13
	v_fma_f16 v14, v70, s6, v83
	v_add_f16_e32 v95, v96, v95
	v_fma_f16 v96, v49, s7, v92
	;; [unrolled: 2-line block ×3, first 2 shown]
	v_add_f16_e32 v88, v96, v88
	v_mul_f16_e32 v96, 0x3770, v52
	v_add_f16_e32 v13, v14, v13
	v_fma_f16 v14, v76, s0, v85
	v_fma_f16 v97, v51, s6, v96
	v_add_f16_e32 v13, v14, v13
	v_fma_f16 v14, v41, s11, -v86
	v_add_f16_e32 v88, v97, v88
	v_mul_f16_e32 v97, 0xba95, v61
	v_add_f16_e32 v14, v26, v14
	v_fma_f16 v15, v43, s1, -v89
	v_fma_f16 v98, v53, s11, -v97
	v_mul_f16_e32 v99, 0xbb7b, v65
	v_add_f16_e32 v14, v15, v14
	v_fma_f16 v15, v45, s10, -v90
	v_add_f16_e32 v98, v3, v98
	v_fma_f16 v100, v64, s1, -v99
	;; [unrolled: 2-line block ×3, first 2 shown]
	v_add_f16_e32 v98, v100, v98
	v_mul_f16_e32 v100, 0xb3a8, v68
	v_add_f16_e32 v14, v15, v14
	v_fma_f16 v15, v49, s7, -v92
	v_fma_f16 v102, v67, s10, -v100
	v_add_f16_e32 v14, v15, v14
	v_fma_f16 v15, v51, s6, -v96
	v_add_f16_e32 v98, v102, v98
	v_mul_f16_e32 v102, 0x394e, v71
	v_add_f16_e32 v14, v15, v14
	v_fma_f16 v15, v53, s11, v97
	v_fma_f16 v103, v70, s0, -v102
	v_add_f16_e32 v15, v3, v15
	v_fma_f16 v16, v64, s1, v99
	v_add_f16_e32 v98, v103, v98
	v_mul_f16_e32 v103, 0x3bf1, v74
	v_add_f16_e32 v15, v16, v15
	v_fma_f16 v16, v67, s10, v100
	v_fma_f16 v104, v73, s7, -v103
	v_add_f16_e32 v15, v16, v15
	v_fma_f16 v16, v70, s0, v102
	v_add_f16_e32 v98, v104, v98
	v_mul_f16_e32 v104, 0x3770, v77
	v_add_f16_e32 v15, v16, v15
	v_fma_f16 v16, v73, s7, v103
	v_fma_f16 v105, v76, s6, -v104
	v_mul_f16_e32 v42, 0xb770, v42
	v_add_f16_e32 v15, v16, v15
	v_fma_f16 v16, v76, s6, v104
	v_add_f16_e32 v98, v105, v98
	v_fma_f16 v105, v41, s6, v42
	v_mul_f16_e32 v44, 0xba95, v44
	v_add_f16_e32 v15, v16, v15
	v_fma_f16 v16, v41, s6, -v42
	v_fma_f16 v107, v76, s7, v106
	v_add_f16_e32 v105, v26, v105
	v_fma_f16 v106, v43, s11, v44
	v_mul_f16_e32 v46, 0xbbf1, v46
	v_add_f16_e32 v10, v10, v11
	v_add_f16_e32 v11, v26, v30
	;; [unrolled: 1-line block ×3, first 2 shown]
	v_fma_f16 v17, v43, s11, -v44
	v_add_f16_e32 v105, v106, v105
	v_fma_f16 v106, v45, s7, v46
	v_mul_f16_e32 v48, 0xbb7b, v48
	v_add_f16_e32 v11, v11, v31
	v_add_f16_e32 v16, v17, v16
	v_fma_f16 v17, v45, s7, -v46
	v_add_f16_e32 v105, v106, v105
	v_fma_f16 v106, v47, s1, v48
	v_mul_f16_e32 v50, 0xb94e, v50
	v_add_f16_e32 v11, v11, v29
	v_add_f16_e32 v16, v17, v16
	v_fma_f16 v17, v47, s1, -v48
	v_add_f16_e32 v105, v106, v105
	v_fma_f16 v106, v49, s0, v50
	v_mul_f16_e32 v52, 0xb3a8, v52
	v_add_f16_e32 v11, v11, v32
	v_add_f16_e32 v16, v17, v16
	v_fma_f16 v17, v49, s0, -v50
	v_add_f16_e32 v105, v106, v105
	v_fma_f16 v106, v51, s10, v52
	v_mul_f16_e32 v61, 0xb770, v61
	v_add_f16_e32 v11, v11, v34
	v_add_f16_e32 v16, v17, v16
	v_fma_f16 v17, v51, s10, -v52
	v_add_f16_e32 v105, v106, v105
	v_fma_f16 v106, v53, s6, -v61
	v_mul_f16_e32 v65, 0xba95, v65
	v_add_f16_e32 v11, v11, v35
	v_add_f16_e32 v16, v17, v16
	v_fma_f16 v17, v53, s6, v61
	v_add_f16_e32 v101, v107, v101
	v_add_f16_e32 v106, v3, v106
	v_fma_f16 v107, v64, s11, -v65
	v_mul_f16_e32 v68, 0xbbf1, v68
	v_add_f16_e32 v11, v11, v37
	v_add_f16_e32 v3, v3, v17
	v_fma_f16 v17, v64, s11, v65
	v_add_f16_e32 v106, v107, v106
	v_fma_f16 v107, v67, s7, -v68
	v_mul_f16_e32 v71, 0xbb7b, v71
	v_add_f16_e32 v11, v11, v33
	v_add_f16_e32 v3, v17, v3
	v_fma_f16 v17, v67, s7, v68
	v_add_f16_e32 v106, v107, v106
	v_fma_f16 v107, v70, s1, -v71
	v_mul_f16_e32 v74, 0xb94e, v74
	v_add_f16_e32 v10, v10, v18
	v_add_f16_e32 v11, v11, v36
	;; [unrolled: 1-line block ×3, first 2 shown]
	v_fma_f16 v17, v70, s1, v71
	v_add_f16_e32 v106, v107, v106
	v_fma_f16 v107, v73, s0, -v74
	v_mul_f16_e32 v77, 0xb3a8, v77
	v_add_f16_e32 v10, v10, v19
	v_add_f16_e32 v11, v11, v38
	;; [unrolled: 1-line block ×3, first 2 shown]
	v_fma_f16 v17, v73, s0, v74
	v_add_f16_e32 v106, v107, v106
	v_fma_f16 v107, v76, s10, -v77
	v_add_f16_e32 v10, v10, v20
	v_add_f16_e32 v11, v11, v39
	;; [unrolled: 1-line block ×3, first 2 shown]
	v_fma_f16 v17, v76, s10, v77
	s_movk_i32 s0, 0x138
	v_mov_b32_e32 v18, 2
	v_add_f16_e32 v106, v107, v106
	v_add_f16_e32 v10, v10, v21
	;; [unrolled: 1-line block ×4, first 2 shown]
	v_mad_u32_u24 v17, v27, s0, 0
	v_lshlrev_b32_sdwa v18, v18, v28 dst_sel:DWORD dst_unused:UNUSED_PAD src0_sel:DWORD src1_sel:BYTE_0
	v_add3_u32 v17, v17, v18, v22
	v_pack_b32_f16 v10, v10, v11
	v_pack_b32_f16 v11, v106, v105
	ds_write2_b32 v17, v10, v11 offset1:6
	v_pack_b32_f16 v10, v98, v88
	v_pack_b32_f16 v11, v75, v57
	ds_write2_b32 v17, v10, v11 offset0:12 offset1:18
	v_pack_b32_f16 v10, v55, v54
	v_pack_b32_f16 v11, v81, v79
	ds_write2_b32 v17, v10, v11 offset0:24 offset1:30
	;; [unrolled: 3-line block ×4, first 2 shown]
	v_pack_b32_f16 v10, v13, v12
	v_pack_b32_f16 v11, v15, v14
	;; [unrolled: 1-line block ×3, first 2 shown]
	ds_write2_b32 v17, v10, v11 offset0:60 offset1:66
	ds_write_b32 v17, v3 offset:288
.LBB0_24:
	s_or_b64 exec, exec, s[4:5]
	v_mov_b32_e32 v3, 0
	v_lshlrev_b64 v[10:11], 2, v[2:3]
	v_mov_b32_e32 v26, s9
	v_add_co_u32_e64 v10, s[0:1], s8, v10
	v_addc_co_u32_e64 v11, s[0:1], v26, v11, s[0:1]
	s_waitcnt lgkmcnt(0)
	s_barrier
	global_load_dwordx4 v[10:13], v[10:11], off offset:304
	v_add_u32_e32 v27, 0x200, v1
	ds_read2_b32 v[14:15], v1 offset0:78 offset1:156
	v_add_u32_e32 v28, 0x400, v1
	v_add_u32_e32 v29, 0x800, v1
	ds_read_b32 v30, v24
	ds_read_b32 v31, v1 offset:2808
	ds_read2_b32 v[16:17], v27 offset0:106 offset1:184
	ds_read2_b32 v[18:19], v28 offset0:134 offset1:212
	;; [unrolled: 1-line block ×3, first 2 shown]
	s_waitcnt lgkmcnt(5)
	v_lshrrev_b32_e32 v35, 16, v15
	s_movk_i32 s0, 0x3b9c
	s_waitcnt lgkmcnt(2)
	v_lshrrev_b32_e32 v38, 16, v17
	s_waitcnt lgkmcnt(1)
	v_lshrrev_b32_e32 v39, 16, v19
	v_lshrrev_b32_e32 v36, 16, v18
	s_waitcnt lgkmcnt(0)
	v_lshrrev_b32_e32 v40, 16, v21
	v_lshrrev_b32_e32 v37, 16, v20
	v_lshrrev_b32_e32 v34, 16, v31
	v_lshrrev_b32_e32 v41, 16, v16
	s_mov_b32 s5, 0xbb9c
	s_movk_i32 s1, 0x38b4
	s_mov_b32 s6, 0xb8b4
	v_lshrrev_b32_e32 v32, 16, v30
	s_movk_i32 s4, 0x34f2
	v_lshrrev_b32_e32 v33, 16, v14
	s_waitcnt vmcnt(0)
	s_barrier
	v_sub_u32_e32 v2, v25, v2
	v_add_u32_e32 v2, v2, v22
	v_mul_f16_sdwa v44, v11, v38 dst_sel:DWORD dst_unused:UNUSED_PAD src0_sel:WORD_1 src1_sel:DWORD
	v_mul_f16_sdwa v46, v12, v39 dst_sel:DWORD dst_unused:UNUSED_PAD src0_sel:WORD_1 src1_sel:DWORD
	;; [unrolled: 1-line block ×8, first 2 shown]
	v_mul_f16_sdwa v52, v36, v11 dst_sel:DWORD dst_unused:UNUSED_PAD src0_sel:DWORD src1_sel:WORD_1
	v_mul_f16_sdwa v53, v18, v11 dst_sel:DWORD dst_unused:UNUSED_PAD src0_sel:DWORD src1_sel:WORD_1
	v_fma_f16 v17, v11, v17, -v44
	v_fma_f16 v19, v12, v19, -v46
	v_mul_f16_sdwa v54, v37, v12 dst_sel:DWORD dst_unused:UNUSED_PAD src0_sel:DWORD src1_sel:WORD_1
	v_mul_f16_sdwa v55, v20, v12 dst_sel:DWORD dst_unused:UNUSED_PAD src0_sel:DWORD src1_sel:WORD_1
	v_fma_f16 v15, v10, v15, -v42
	v_fma_f16 v35, v10, v35, v43
	v_fma_f16 v38, v11, v38, v45
	v_fma_f16 v21, v13, v21, -v48
	v_fma_f16 v40, v13, v40, v49
	v_fma_f16 v18, v18, v11, -v52
	v_fma_f16 v11, v36, v11, v53
	v_add_f16_e32 v36, v17, v19
	v_mul_f16_sdwa v50, v10, v41 dst_sel:DWORD dst_unused:UNUSED_PAD src0_sel:WORD_1 src1_sel:DWORD
	v_mul_f16_sdwa v51, v10, v16 dst_sel:DWORD dst_unused:UNUSED_PAD src0_sel:WORD_1 src1_sel:DWORD
	v_mul_f16_sdwa v56, v34, v13 dst_sel:DWORD dst_unused:UNUSED_PAD src0_sel:DWORD src1_sel:WORD_1
	v_mul_f16_sdwa v57, v31, v13 dst_sel:DWORD dst_unused:UNUSED_PAD src0_sel:DWORD src1_sel:WORD_1
	v_fma_f16 v39, v12, v39, v47
	v_fma_f16 v20, v20, v12, -v54
	v_fma_f16 v12, v37, v12, v55
	v_sub_f16_e32 v37, v35, v40
	v_add_f16_e32 v44, v15, v21
	v_fma_f16 v36, v36, -0.5, v30
	v_fma_f16 v16, v10, v16, -v50
	v_fma_f16 v10, v10, v41, v51
	v_fma_f16 v31, v31, v13, -v56
	v_fma_f16 v13, v34, v13, v57
	v_add_f16_e32 v34, v30, v15
	v_sub_f16_e32 v41, v38, v39
	v_sub_f16_e32 v42, v15, v17
	;; [unrolled: 1-line block ×5, first 2 shown]
	v_fma_f16 v30, v44, -0.5, v30
	v_fma_f16 v44, v37, s0, v36
	v_fma_f16 v36, v37, s5, v36
	v_add_f16_e32 v34, v34, v17
	v_add_f16_e32 v42, v42, v43
	;; [unrolled: 1-line block ×3, first 2 shown]
	v_fma_f16 v45, v41, s5, v30
	v_fma_f16 v44, v41, s1, v44
	;; [unrolled: 1-line block ×4, first 2 shown]
	v_add_f16_e32 v41, v38, v39
	v_add_f16_e32 v34, v34, v19
	v_fma_f16 v41, v41, -0.5, v32
	v_sub_f16_e32 v15, v15, v21
	v_add_f16_e32 v34, v34, v21
	v_fma_f16 v45, v37, s1, v45
	v_fma_f16 v30, v37, s6, v30
	;; [unrolled: 1-line block ×3, first 2 shown]
	v_sub_f16_e32 v17, v17, v19
	v_fma_f16 v44, v42, s4, v44
	v_fma_f16 v36, v42, s4, v36
	;; [unrolled: 1-line block ×5, first 2 shown]
	v_sub_f16_e32 v21, v35, v38
	v_sub_f16_e32 v43, v40, v39
	v_fma_f16 v41, v15, s0, v41
	v_add_f16_e32 v21, v21, v43
	v_fma_f16 v41, v17, s1, v41
	v_fma_f16 v19, v21, s4, v19
	;; [unrolled: 1-line block ×3, first 2 shown]
	v_add_f16_e32 v41, v35, v40
	v_add_f16_e32 v37, v32, v35
	v_fma_f16 v32, v41, -0.5, v32
	v_add_f16_e32 v37, v37, v38
	v_fma_f16 v41, v17, s0, v32
	v_sub_f16_e32 v35, v38, v35
	v_sub_f16_e32 v38, v39, v40
	v_fma_f16 v17, v17, s5, v32
	v_fma_f16 v41, v15, s6, v41
	v_add_f16_e32 v35, v35, v38
	v_fma_f16 v15, v15, s1, v17
	v_add_f16_e32 v32, v18, v20
	v_add_f16_e32 v37, v37, v39
	v_fma_f16 v38, v35, s4, v41
	v_fma_f16 v15, v35, s4, v15
	v_fma_f16 v32, v32, -0.5, v14
	v_sub_f16_e32 v35, v10, v13
	v_add_f16_e32 v37, v37, v40
	v_fma_f16 v39, v35, s0, v32
	v_sub_f16_e32 v40, v11, v12
	v_sub_f16_e32 v41, v16, v18
	;; [unrolled: 1-line block ×3, first 2 shown]
	v_fma_f16 v32, v35, s5, v32
	v_fma_f16 v39, v40, s1, v39
	v_add_f16_e32 v41, v41, v43
	v_fma_f16 v32, v40, s6, v32
	v_fma_f16 v39, v41, s4, v39
	;; [unrolled: 1-line block ×3, first 2 shown]
	v_add_f16_e32 v41, v16, v31
	v_add_f16_e32 v17, v14, v16
	v_fma_f16 v14, v41, -0.5, v14
	v_add_f16_e32 v17, v17, v18
	v_fma_f16 v41, v40, s5, v14
	v_fma_f16 v14, v40, s0, v14
	v_add_f16_e32 v40, v11, v12
	v_add_f16_e32 v17, v17, v20
	v_sub_f16_e32 v43, v18, v16
	v_sub_f16_e32 v45, v20, v31
	v_fma_f16 v40, v40, -0.5, v33
	v_sub_f16_e32 v16, v16, v31
	v_add_f16_e32 v17, v17, v31
	v_fma_f16 v41, v35, s1, v41
	v_add_f16_e32 v43, v43, v45
	v_fma_f16 v14, v35, s6, v14
	v_fma_f16 v31, v16, s5, v40
	v_sub_f16_e32 v18, v18, v20
	v_fma_f16 v41, v43, s4, v41
	v_fma_f16 v14, v43, s4, v14
	;; [unrolled: 1-line block ×3, first 2 shown]
	v_sub_f16_e32 v31, v10, v11
	v_sub_f16_e32 v43, v13, v12
	v_fma_f16 v40, v16, s0, v40
	v_add_f16_e32 v31, v31, v43
	v_fma_f16 v40, v18, s1, v40
	v_add_f16_e32 v35, v33, v10
	v_fma_f16 v20, v31, s4, v20
	v_fma_f16 v31, v31, s4, v40
	v_add_f16_e32 v40, v10, v13
	v_add_f16_e32 v35, v35, v11
	v_fma_f16 v33, v40, -0.5, v33
	v_add_f16_e32 v35, v35, v12
	v_fma_f16 v40, v18, s0, v33
	v_sub_f16_e32 v10, v11, v10
	v_sub_f16_e32 v11, v12, v13
	v_fma_f16 v12, v18, s5, v33
	v_fma_f16 v40, v16, s6, v40
	v_add_f16_e32 v10, v10, v11
	v_fma_f16 v12, v16, s1, v12
	v_add_f16_e32 v35, v35, v13
	v_fma_f16 v11, v10, s4, v40
	v_fma_f16 v10, v10, s4, v12
	v_pack_b32_f16 v12, v34, v37
	v_pack_b32_f16 v13, v44, v19
	ds_write2_b32 v1, v12, v13 offset1:78
	v_pack_b32_f16 v12, v42, v38
	v_pack_b32_f16 v13, v30, v15
	ds_write2_b32 v1, v12, v13 offset0:156 offset1:234
	v_pack_b32_f16 v12, v36, v21
	v_pack_b32_f16 v13, v17, v35
	ds_write2_b32 v28, v12, v13 offset0:56 offset1:134
	v_pack_b32_f16 v12, v39, v20
	v_pack_b32_f16 v11, v41, v11
	v_add_u32_e32 v13, 0x600, v1
	v_add_co_u32_e64 v6, s[0:1], s8, v6
	ds_write2_b32 v13, v12, v11 offset0:84 offset1:162
	v_pack_b32_f16 v10, v14, v10
	v_pack_b32_f16 v11, v32, v31
	v_addc_co_u32_e64 v7, s[0:1], v26, v7, s[0:1]
	ds_write2_b32 v29, v10, v11 offset0:112 offset1:190
	s_waitcnt lgkmcnt(0)
	s_barrier
	global_load_dword v14, v[6:7], off offset:1552
	v_add_co_u32_e64 v6, s[0:1], s8, v8
	v_addc_co_u32_e64 v7, s[0:1], v26, v9, s[0:1]
	global_load_dword v15, v[6:7], off offset:1864
	global_load_dword v16, v[6:7], off offset:2176
	;; [unrolled: 1-line block ×4, first 2 shown]
	ds_read2_b32 v[6:7], v28 offset0:134 offset1:212
	ds_read2_b32 v[8:9], v1 offset0:78 offset1:156
	;; [unrolled: 1-line block ×4, first 2 shown]
	ds_read_b32 v19, v24
	ds_read_b32 v20, v1 offset:2808
	s_mov_b32 s0, 0xffff
	s_waitcnt vmcnt(0) lgkmcnt(0)
	s_barrier
	v_pk_mul_f16 v21, v14, v6 op_sel:[0,1]
	v_pk_fma_f16 v22, v14, v6, v21 op_sel:[0,0,1] op_sel_hi:[1,1,0] neg_lo:[0,0,1] neg_hi:[0,0,1]
	v_pk_fma_f16 v6, v14, v6, v21 op_sel:[0,0,1] op_sel_hi:[1,0,0]
	v_bfi_b32 v6, s0, v22, v6
	v_pk_add_f16 v6, v19, v6 neg_lo:[0,1] neg_hi:[0,1]
	v_pk_fma_f16 v14, v19, 2.0, v6 op_sel_hi:[1,0,1] neg_lo:[0,0,1] neg_hi:[0,0,1]
	v_pk_mul_f16 v19, v15, v7 op_sel:[0,1]
	v_pk_fma_f16 v21, v15, v7, v19 op_sel:[0,0,1] op_sel_hi:[1,1,0] neg_lo:[0,0,1] neg_hi:[0,0,1]
	v_pk_fma_f16 v7, v15, v7, v19 op_sel:[0,0,1] op_sel_hi:[1,0,0]
	v_pk_mul_f16 v15, v16, v10 op_sel:[0,1]
	v_pk_fma_f16 v19, v16, v10, v15 op_sel:[0,0,1] op_sel_hi:[1,1,0] neg_lo:[0,0,1] neg_hi:[0,0,1]
	v_pk_fma_f16 v10, v16, v10, v15 op_sel:[0,0,1] op_sel_hi:[1,0,0]
	;; [unrolled: 3-line block ×3, first 2 shown]
	v_pk_mul_f16 v15, v18, v20 op_sel:[0,1]
	v_bfi_b32 v11, s0, v16, v11
	v_pk_fma_f16 v16, v18, v20, v15 op_sel:[0,0,1] op_sel_hi:[1,1,0] neg_lo:[0,0,1] neg_hi:[0,0,1]
	v_pk_fma_f16 v15, v18, v20, v15 op_sel:[0,0,1] op_sel_hi:[1,0,0]
	v_bfi_b32 v7, s0, v21, v7
	v_bfi_b32 v10, s0, v19, v10
	;; [unrolled: 1-line block ×3, first 2 shown]
	v_pk_add_f16 v7, v8, v7 neg_lo:[0,1] neg_hi:[0,1]
	v_pk_add_f16 v10, v9, v10 neg_lo:[0,1] neg_hi:[0,1]
	;; [unrolled: 1-line block ×4, first 2 shown]
	v_pk_fma_f16 v8, v8, 2.0, v7 op_sel_hi:[1,0,1] neg_lo:[0,0,1] neg_hi:[0,0,1]
	v_pk_fma_f16 v9, v9, 2.0, v10 op_sel_hi:[1,0,1] neg_lo:[0,0,1] neg_hi:[0,0,1]
	;; [unrolled: 1-line block ×4, first 2 shown]
	ds_write_b32 v1, v6 offset:1560
	ds_write2_b32 v1, v14, v8 offset1:78
	ds_write_b32 v2, v7 offset:1872
	ds_write_b32 v1, v9 offset:624
	;; [unrolled: 1-line block ×3, first 2 shown]
	ds_write2_b32 v27, v12, v13 offset0:106 offset1:184
	ds_write2_b32 v29, v11, v15 offset0:112 offset1:190
	s_waitcnt lgkmcnt(0)
	s_barrier
	s_and_saveexec_b64 s[0:1], vcc
	s_cbranch_execz .LBB0_26
; %bb.25:
	v_lshl_add_u32 v8, v0, 2, v23
	v_mov_b32_e32 v1, v3
	ds_read2_b32 v[6:7], v8 offset1:78
	v_mov_b32_e32 v2, s3
	v_add_co_u32_e32 v9, vcc, s2, v4
	v_addc_co_u32_e32 v10, vcc, v2, v5, vcc
	v_lshlrev_b64 v[1:2], 2, v[0:1]
	ds_read2_b32 v[4:5], v8 offset0:156 offset1:234
	v_add_co_u32_e32 v1, vcc, v9, v1
	v_addc_co_u32_e32 v2, vcc, v10, v2, vcc
	s_waitcnt lgkmcnt(1)
	global_store_dword v[1:2], v6, off
	v_add_u32_e32 v2, 0x4e, v0
	v_lshlrev_b64 v[1:2], 2, v[2:3]
	v_add_co_u32_e32 v1, vcc, v9, v1
	v_addc_co_u32_e32 v2, vcc, v10, v2, vcc
	global_store_dword v[1:2], v7, off
	v_add_u32_e32 v2, 0x9c, v0
	v_lshlrev_b64 v[1:2], 2, v[2:3]
	v_add_co_u32_e32 v1, vcc, v9, v1
	v_addc_co_u32_e32 v2, vcc, v10, v2, vcc
	s_waitcnt lgkmcnt(0)
	global_store_dword v[1:2], v4, off
	v_add_u32_e32 v2, 0xea, v0
	v_lshlrev_b64 v[1:2], 2, v[2:3]
	v_add_co_u32_e32 v1, vcc, v9, v1
	v_addc_co_u32_e32 v2, vcc, v10, v2, vcc
	global_store_dword v[1:2], v5, off
	v_add_u32_e32 v1, 0x400, v8
	v_add_u32_e32 v2, 0x138, v0
	ds_read2_b32 v[4:5], v1 offset0:56 offset1:134
	v_lshlrev_b64 v[1:2], 2, v[2:3]
	v_add_co_u32_e32 v1, vcc, v9, v1
	v_addc_co_u32_e32 v2, vcc, v10, v2, vcc
	s_waitcnt lgkmcnt(0)
	global_store_dword v[1:2], v4, off
	v_add_u32_e32 v2, 0x186, v0
	v_lshlrev_b64 v[1:2], 2, v[2:3]
	v_add_co_u32_e32 v1, vcc, v9, v1
	v_addc_co_u32_e32 v2, vcc, v10, v2, vcc
	global_store_dword v[1:2], v5, off
	v_add_u32_e32 v1, 0x600, v8
	v_add_u32_e32 v2, 0x1d4, v0
	ds_read2_b32 v[4:5], v1 offset0:84 offset1:162
	;; [unrolled: 13-line block ×3, first 2 shown]
	v_lshlrev_b64 v[1:2], 2, v[2:3]
	v_add_co_u32_e32 v1, vcc, v9, v1
	v_addc_co_u32_e32 v2, vcc, v10, v2, vcc
	s_waitcnt lgkmcnt(0)
	global_store_dword v[1:2], v4, off
	v_add_u32_e32 v2, 0x2be, v0
	v_lshlrev_b64 v[0:1], 2, v[2:3]
	v_add_co_u32_e32 v0, vcc, v9, v0
	v_addc_co_u32_e32 v1, vcc, v10, v1, vcc
	global_store_dword v[0:1], v5, off
.LBB0_26:
	s_endpgm
	.section	.rodata,"a",@progbits
	.p2align	6, 0x0
	.amdhsa_kernel fft_rtc_fwd_len780_factors_2_3_13_5_2_wgs_234_tpt_78_halfLds_half_ip_CI_unitstride_sbrr_C2R_dirReg
		.amdhsa_group_segment_fixed_size 0
		.amdhsa_private_segment_fixed_size 0
		.amdhsa_kernarg_size 88
		.amdhsa_user_sgpr_count 6
		.amdhsa_user_sgpr_private_segment_buffer 1
		.amdhsa_user_sgpr_dispatch_ptr 0
		.amdhsa_user_sgpr_queue_ptr 0
		.amdhsa_user_sgpr_kernarg_segment_ptr 1
		.amdhsa_user_sgpr_dispatch_id 0
		.amdhsa_user_sgpr_flat_scratch_init 0
		.amdhsa_user_sgpr_private_segment_size 0
		.amdhsa_uses_dynamic_stack 0
		.amdhsa_system_sgpr_private_segment_wavefront_offset 0
		.amdhsa_system_sgpr_workgroup_id_x 1
		.amdhsa_system_sgpr_workgroup_id_y 0
		.amdhsa_system_sgpr_workgroup_id_z 0
		.amdhsa_system_sgpr_workgroup_info 0
		.amdhsa_system_vgpr_workitem_id 0
		.amdhsa_next_free_vgpr 108
		.amdhsa_next_free_sgpr 22
		.amdhsa_reserve_vcc 1
		.amdhsa_reserve_flat_scratch 0
		.amdhsa_float_round_mode_32 0
		.amdhsa_float_round_mode_16_64 0
		.amdhsa_float_denorm_mode_32 3
		.amdhsa_float_denorm_mode_16_64 3
		.amdhsa_dx10_clamp 1
		.amdhsa_ieee_mode 1
		.amdhsa_fp16_overflow 0
		.amdhsa_exception_fp_ieee_invalid_op 0
		.amdhsa_exception_fp_denorm_src 0
		.amdhsa_exception_fp_ieee_div_zero 0
		.amdhsa_exception_fp_ieee_overflow 0
		.amdhsa_exception_fp_ieee_underflow 0
		.amdhsa_exception_fp_ieee_inexact 0
		.amdhsa_exception_int_div_zero 0
	.end_amdhsa_kernel
	.text
.Lfunc_end0:
	.size	fft_rtc_fwd_len780_factors_2_3_13_5_2_wgs_234_tpt_78_halfLds_half_ip_CI_unitstride_sbrr_C2R_dirReg, .Lfunc_end0-fft_rtc_fwd_len780_factors_2_3_13_5_2_wgs_234_tpt_78_halfLds_half_ip_CI_unitstride_sbrr_C2R_dirReg
                                        ; -- End function
	.section	.AMDGPU.csdata,"",@progbits
; Kernel info:
; codeLenInByte = 9444
; NumSgprs: 26
; NumVgprs: 108
; ScratchSize: 0
; MemoryBound: 0
; FloatMode: 240
; IeeeMode: 1
; LDSByteSize: 0 bytes/workgroup (compile time only)
; SGPRBlocks: 3
; VGPRBlocks: 26
; NumSGPRsForWavesPerEU: 26
; NumVGPRsForWavesPerEU: 108
; Occupancy: 2
; WaveLimiterHint : 1
; COMPUTE_PGM_RSRC2:SCRATCH_EN: 0
; COMPUTE_PGM_RSRC2:USER_SGPR: 6
; COMPUTE_PGM_RSRC2:TRAP_HANDLER: 0
; COMPUTE_PGM_RSRC2:TGID_X_EN: 1
; COMPUTE_PGM_RSRC2:TGID_Y_EN: 0
; COMPUTE_PGM_RSRC2:TGID_Z_EN: 0
; COMPUTE_PGM_RSRC2:TIDIG_COMP_CNT: 0
	.type	__hip_cuid_6776a6d68999e2f2,@object ; @__hip_cuid_6776a6d68999e2f2
	.section	.bss,"aw",@nobits
	.globl	__hip_cuid_6776a6d68999e2f2
__hip_cuid_6776a6d68999e2f2:
	.byte	0                               ; 0x0
	.size	__hip_cuid_6776a6d68999e2f2, 1

	.ident	"AMD clang version 19.0.0git (https://github.com/RadeonOpenCompute/llvm-project roc-6.4.0 25133 c7fe45cf4b819c5991fe208aaa96edf142730f1d)"
	.section	".note.GNU-stack","",@progbits
	.addrsig
	.addrsig_sym __hip_cuid_6776a6d68999e2f2
	.amdgpu_metadata
---
amdhsa.kernels:
  - .args:
      - .actual_access:  read_only
        .address_space:  global
        .offset:         0
        .size:           8
        .value_kind:     global_buffer
      - .offset:         8
        .size:           8
        .value_kind:     by_value
      - .actual_access:  read_only
        .address_space:  global
        .offset:         16
        .size:           8
        .value_kind:     global_buffer
      - .actual_access:  read_only
        .address_space:  global
        .offset:         24
        .size:           8
        .value_kind:     global_buffer
      - .offset:         32
        .size:           8
        .value_kind:     by_value
      - .actual_access:  read_only
        .address_space:  global
        .offset:         40
        .size:           8
        .value_kind:     global_buffer
      - .actual_access:  read_only
        .address_space:  global
        .offset:         48
        .size:           8
        .value_kind:     global_buffer
      - .offset:         56
        .size:           4
        .value_kind:     by_value
      - .actual_access:  read_only
        .address_space:  global
        .offset:         64
        .size:           8
        .value_kind:     global_buffer
      - .actual_access:  read_only
        .address_space:  global
        .offset:         72
        .size:           8
        .value_kind:     global_buffer
      - .address_space:  global
        .offset:         80
        .size:           8
        .value_kind:     global_buffer
    .group_segment_fixed_size: 0
    .kernarg_segment_align: 8
    .kernarg_segment_size: 88
    .language:       OpenCL C
    .language_version:
      - 2
      - 0
    .max_flat_workgroup_size: 234
    .name:           fft_rtc_fwd_len780_factors_2_3_13_5_2_wgs_234_tpt_78_halfLds_half_ip_CI_unitstride_sbrr_C2R_dirReg
    .private_segment_fixed_size: 0
    .sgpr_count:     26
    .sgpr_spill_count: 0
    .symbol:         fft_rtc_fwd_len780_factors_2_3_13_5_2_wgs_234_tpt_78_halfLds_half_ip_CI_unitstride_sbrr_C2R_dirReg.kd
    .uniform_work_group_size: 1
    .uses_dynamic_stack: false
    .vgpr_count:     108
    .vgpr_spill_count: 0
    .wavefront_size: 64
amdhsa.target:   amdgcn-amd-amdhsa--gfx906
amdhsa.version:
  - 1
  - 2
...

	.end_amdgpu_metadata
